;; amdgpu-corpus repo=ROCm/rocFFT kind=compiled arch=gfx906 opt=O3
	.text
	.amdgcn_target "amdgcn-amd-amdhsa--gfx906"
	.amdhsa_code_object_version 6
	.protected	fft_rtc_fwd_len65_factors_13_5_wgs_247_tpt_13_halfLds_sp_op_CI_CI_sbrr_dirReg ; -- Begin function fft_rtc_fwd_len65_factors_13_5_wgs_247_tpt_13_halfLds_sp_op_CI_CI_sbrr_dirReg
	.globl	fft_rtc_fwd_len65_factors_13_5_wgs_247_tpt_13_halfLds_sp_op_CI_CI_sbrr_dirReg
	.p2align	8
	.type	fft_rtc_fwd_len65_factors_13_5_wgs_247_tpt_13_halfLds_sp_op_CI_CI_sbrr_dirReg,@function
fft_rtc_fwd_len65_factors_13_5_wgs_247_tpt_13_halfLds_sp_op_CI_CI_sbrr_dirReg: ; @fft_rtc_fwd_len65_factors_13_5_wgs_247_tpt_13_halfLds_sp_op_CI_CI_sbrr_dirReg
; %bb.0:
	s_load_dwordx4 s[16:19], s[4:5], 0x18
	s_load_dwordx4 s[12:15], s[4:5], 0x0
	;; [unrolled: 1-line block ×3, first 2 shown]
	v_mul_u32_u24_e32 v1, 0x13b2, v0
	v_lshrrev_b32_e32 v1, 16, v1
	v_mad_u64_u32 v[31:32], s[0:1], s6, 19, v[1:2]
	s_waitcnt lgkmcnt(0)
	s_load_dwordx2 s[20:21], s[16:17], 0x0
	s_load_dwordx2 s[2:3], s[18:19], 0x0
	v_mov_b32_e32 v5, 0
	v_cmp_lt_u64_e64 s[0:1], s[14:15], 2
	v_mov_b32_e32 v33, 0
	v_mov_b32_e32 v32, v5
	;; [unrolled: 1-line block ×5, first 2 shown]
	s_and_b64 vcc, exec, s[0:1]
	v_mov_b32_e32 v2, v34
	v_mov_b32_e32 v4, v32
	s_cbranch_vccnz .LBB0_8
; %bb.1:
	s_load_dwordx2 s[0:1], s[4:5], 0x10
	s_add_u32 s6, s18, 8
	s_addc_u32 s7, s19, 0
	s_add_u32 s22, s16, 8
	s_addc_u32 s23, s17, 0
	v_mov_b32_e32 v33, 0
	s_waitcnt lgkmcnt(0)
	s_add_u32 s24, s0, 8
	v_mov_b32_e32 v34, 0
	v_mov_b32_e32 v1, v33
	;; [unrolled: 1-line block ×3, first 2 shown]
	s_addc_u32 s25, s1, 0
	s_mov_b64 s[26:27], 1
	v_mov_b32_e32 v2, v34
	v_mov_b32_e32 v8, v32
.LBB0_2:                                ; =>This Inner Loop Header: Depth=1
	s_load_dwordx2 s[28:29], s[24:25], 0x0
                                        ; implicit-def: $vgpr3_vgpr4
	s_waitcnt lgkmcnt(0)
	v_or_b32_e32 v6, s29, v8
	v_cmp_ne_u64_e32 vcc, 0, v[5:6]
	s_and_saveexec_b64 s[0:1], vcc
	s_xor_b64 s[30:31], exec, s[0:1]
	s_cbranch_execz .LBB0_4
; %bb.3:                                ;   in Loop: Header=BB0_2 Depth=1
	v_cvt_f32_u32_e32 v3, s28
	v_cvt_f32_u32_e32 v4, s29
	s_sub_u32 s0, 0, s28
	s_subb_u32 s1, 0, s29
	v_mac_f32_e32 v3, 0x4f800000, v4
	v_rcp_f32_e32 v3, v3
	v_mul_f32_e32 v3, 0x5f7ffffc, v3
	v_mul_f32_e32 v4, 0x2f800000, v3
	v_trunc_f32_e32 v4, v4
	v_mac_f32_e32 v3, 0xcf800000, v4
	v_cvt_u32_f32_e32 v4, v4
	v_cvt_u32_f32_e32 v3, v3
	v_mul_lo_u32 v6, s0, v4
	v_mul_hi_u32 v9, s0, v3
	v_mul_lo_u32 v11, s1, v3
	v_mul_lo_u32 v10, s0, v3
	v_add_u32_e32 v6, v9, v6
	v_add_u32_e32 v6, v6, v11
	v_mul_hi_u32 v9, v3, v10
	v_mul_lo_u32 v11, v3, v6
	v_mul_hi_u32 v13, v3, v6
	v_mul_hi_u32 v12, v4, v10
	v_mul_lo_u32 v10, v4, v10
	v_mul_hi_u32 v14, v4, v6
	v_add_co_u32_e32 v9, vcc, v9, v11
	v_addc_co_u32_e32 v11, vcc, 0, v13, vcc
	v_mul_lo_u32 v6, v4, v6
	v_add_co_u32_e32 v9, vcc, v9, v10
	v_addc_co_u32_e32 v9, vcc, v11, v12, vcc
	v_addc_co_u32_e32 v10, vcc, 0, v14, vcc
	v_add_co_u32_e32 v6, vcc, v9, v6
	v_addc_co_u32_e32 v9, vcc, 0, v10, vcc
	v_add_co_u32_e32 v3, vcc, v3, v6
	v_addc_co_u32_e32 v4, vcc, v4, v9, vcc
	v_mul_lo_u32 v6, s0, v4
	v_mul_hi_u32 v9, s0, v3
	v_mul_lo_u32 v10, s1, v3
	v_mul_lo_u32 v11, s0, v3
	v_add_u32_e32 v6, v9, v6
	v_add_u32_e32 v6, v6, v10
	v_mul_lo_u32 v12, v3, v6
	v_mul_hi_u32 v13, v3, v11
	v_mul_hi_u32 v14, v3, v6
	;; [unrolled: 1-line block ×3, first 2 shown]
	v_mul_lo_u32 v11, v4, v11
	v_mul_hi_u32 v9, v4, v6
	v_add_co_u32_e32 v12, vcc, v13, v12
	v_addc_co_u32_e32 v13, vcc, 0, v14, vcc
	v_mul_lo_u32 v6, v4, v6
	v_add_co_u32_e32 v11, vcc, v12, v11
	v_addc_co_u32_e32 v10, vcc, v13, v10, vcc
	v_addc_co_u32_e32 v9, vcc, 0, v9, vcc
	v_add_co_u32_e32 v6, vcc, v10, v6
	v_addc_co_u32_e32 v9, vcc, 0, v9, vcc
	v_add_co_u32_e32 v6, vcc, v3, v6
	v_addc_co_u32_e32 v9, vcc, v4, v9, vcc
	v_mad_u64_u32 v[3:4], s[0:1], v7, v9, 0
	v_mul_hi_u32 v10, v7, v6
	v_add_co_u32_e32 v11, vcc, v10, v3
	v_addc_co_u32_e32 v12, vcc, 0, v4, vcc
	v_mad_u64_u32 v[3:4], s[0:1], v8, v6, 0
	v_mad_u64_u32 v[9:10], s[0:1], v8, v9, 0
	v_add_co_u32_e32 v3, vcc, v11, v3
	v_addc_co_u32_e32 v3, vcc, v12, v4, vcc
	v_addc_co_u32_e32 v4, vcc, 0, v10, vcc
	v_add_co_u32_e32 v6, vcc, v3, v9
	v_addc_co_u32_e32 v9, vcc, 0, v4, vcc
	v_mul_lo_u32 v10, s29, v6
	v_mul_lo_u32 v11, s28, v9
	v_mad_u64_u32 v[3:4], s[0:1], s28, v6, 0
	v_add3_u32 v4, v4, v11, v10
	v_sub_u32_e32 v10, v8, v4
	v_mov_b32_e32 v11, s29
	v_sub_co_u32_e32 v3, vcc, v7, v3
	v_subb_co_u32_e64 v10, s[0:1], v10, v11, vcc
	v_subrev_co_u32_e64 v11, s[0:1], s28, v3
	v_subbrev_co_u32_e64 v10, s[0:1], 0, v10, s[0:1]
	v_cmp_le_u32_e64 s[0:1], s29, v10
	v_cndmask_b32_e64 v12, 0, -1, s[0:1]
	v_cmp_le_u32_e64 s[0:1], s28, v11
	v_cndmask_b32_e64 v11, 0, -1, s[0:1]
	v_cmp_eq_u32_e64 s[0:1], s29, v10
	v_cndmask_b32_e64 v10, v12, v11, s[0:1]
	v_add_co_u32_e64 v11, s[0:1], 2, v6
	v_addc_co_u32_e64 v12, s[0:1], 0, v9, s[0:1]
	v_add_co_u32_e64 v13, s[0:1], 1, v6
	v_addc_co_u32_e64 v14, s[0:1], 0, v9, s[0:1]
	v_subb_co_u32_e32 v4, vcc, v8, v4, vcc
	v_cmp_ne_u32_e64 s[0:1], 0, v10
	v_cmp_le_u32_e32 vcc, s29, v4
	v_cndmask_b32_e64 v10, v14, v12, s[0:1]
	v_cndmask_b32_e64 v12, 0, -1, vcc
	v_cmp_le_u32_e32 vcc, s28, v3
	v_cndmask_b32_e64 v3, 0, -1, vcc
	v_cmp_eq_u32_e32 vcc, s29, v4
	v_cndmask_b32_e32 v3, v12, v3, vcc
	v_cmp_ne_u32_e32 vcc, 0, v3
	v_cndmask_b32_e64 v3, v13, v11, s[0:1]
	v_cndmask_b32_e32 v4, v9, v10, vcc
	v_cndmask_b32_e32 v3, v6, v3, vcc
.LBB0_4:                                ;   in Loop: Header=BB0_2 Depth=1
	s_andn2_saveexec_b64 s[0:1], s[30:31]
	s_cbranch_execz .LBB0_6
; %bb.5:                                ;   in Loop: Header=BB0_2 Depth=1
	v_cvt_f32_u32_e32 v3, s28
	s_sub_i32 s30, 0, s28
	v_rcp_iflag_f32_e32 v3, v3
	v_mul_f32_e32 v3, 0x4f7ffffe, v3
	v_cvt_u32_f32_e32 v3, v3
	v_mul_lo_u32 v4, s30, v3
	v_mul_hi_u32 v4, v3, v4
	v_add_u32_e32 v3, v3, v4
	v_mul_hi_u32 v3, v7, v3
	v_mul_lo_u32 v4, v3, s28
	v_add_u32_e32 v6, 1, v3
	v_sub_u32_e32 v4, v7, v4
	v_subrev_u32_e32 v9, s28, v4
	v_cmp_le_u32_e32 vcc, s28, v4
	v_cndmask_b32_e32 v4, v4, v9, vcc
	v_cndmask_b32_e32 v3, v3, v6, vcc
	v_add_u32_e32 v6, 1, v3
	v_cmp_le_u32_e32 vcc, s28, v4
	v_cndmask_b32_e32 v3, v3, v6, vcc
	v_mov_b32_e32 v4, v5
.LBB0_6:                                ;   in Loop: Header=BB0_2 Depth=1
	s_or_b64 exec, exec, s[0:1]
	v_mul_lo_u32 v6, v4, s28
	v_mul_lo_u32 v11, v3, s29
	v_mad_u64_u32 v[9:10], s[0:1], v3, s28, 0
	s_load_dwordx2 s[0:1], s[22:23], 0x0
	s_load_dwordx2 s[28:29], s[6:7], 0x0
	v_add3_u32 v6, v10, v11, v6
	v_sub_co_u32_e32 v7, vcc, v7, v9
	v_subb_co_u32_e32 v6, vcc, v8, v6, vcc
	s_waitcnt lgkmcnt(0)
	v_mul_lo_u32 v8, s0, v6
	v_mul_lo_u32 v9, s1, v7
	v_mad_u64_u32 v[33:34], s[0:1], s0, v7, v[33:34]
	v_mul_lo_u32 v6, s28, v6
	v_mul_lo_u32 v10, s29, v7
	v_mad_u64_u32 v[1:2], s[0:1], s28, v7, v[1:2]
	s_add_u32 s26, s26, 1
	s_addc_u32 s27, s27, 0
	s_add_u32 s6, s6, 8
	v_add3_u32 v2, v10, v2, v6
	s_addc_u32 s7, s7, 0
	v_mov_b32_e32 v6, s14
	s_add_u32 s22, s22, 8
	v_mov_b32_e32 v7, s15
	s_addc_u32 s23, s23, 0
	v_cmp_ge_u64_e32 vcc, s[26:27], v[6:7]
	s_add_u32 s24, s24, 8
	v_add3_u32 v34, v9, v34, v8
	s_addc_u32 s25, s25, 0
	s_cbranch_vccnz .LBB0_8
; %bb.7:                                ;   in Loop: Header=BB0_2 Depth=1
	v_mov_b32_e32 v8, v4
	v_mov_b32_e32 v7, v3
	s_branch .LBB0_2
.LBB0_8:
	s_lshl_b64 s[22:23], s[14:15], 3
	s_load_dwordx2 s[0:1], s[4:5], 0x28
	s_add_u32 s4, s18, s22
	s_mov_b32 s5, 0x13b13b14
	v_mul_hi_u32 v5, v0, s5
	s_addc_u32 s5, s19, s23
	s_load_dwordx2 s[4:5], s[4:5], 0x0
	s_waitcnt lgkmcnt(0)
	v_cmp_gt_u64_e32 vcc, s[0:1], v[3:4]
	v_mul_u32_u24_e32 v5, 13, v5
	v_sub_u32_e32 v0, v0, v5
	v_mov_b32_e32 v22, 0
	v_mov_b32_e32 v35, 0
	;; [unrolled: 1-line block ×3, first 2 shown]
                                        ; implicit-def: $vgpr28
                                        ; implicit-def: $vgpr24
                                        ; implicit-def: $vgpr20
                                        ; implicit-def: $vgpr16
                                        ; implicit-def: $vgpr10
                                        ; implicit-def: $vgpr6
                                        ; implicit-def: $vgpr30
                                        ; implicit-def: $vgpr26
                                        ; implicit-def: $vgpr18
                                        ; implicit-def: $vgpr14
                                        ; implicit-def: $vgpr12
                                        ; implicit-def: $vgpr8
	s_and_saveexec_b64 s[6:7], vcc
	s_cbranch_execz .LBB0_12
; %bb.9:
	v_cmp_gt_u32_e64 s[0:1], 5, v0
	v_mov_b32_e32 v21, 0
	v_mov_b32_e32 v22, 0
                                        ; implicit-def: $vgpr7
                                        ; implicit-def: $vgpr11
                                        ; implicit-def: $vgpr13
                                        ; implicit-def: $vgpr17
                                        ; implicit-def: $vgpr25
                                        ; implicit-def: $vgpr29
                                        ; implicit-def: $vgpr5
                                        ; implicit-def: $vgpr9
                                        ; implicit-def: $vgpr15
                                        ; implicit-def: $vgpr19
                                        ; implicit-def: $vgpr23
                                        ; implicit-def: $vgpr27
	s_and_saveexec_b64 s[14:15], s[0:1]
	s_cbranch_execz .LBB0_11
; %bb.10:
	s_add_u32 s0, s16, s22
	s_addc_u32 s1, s17, s23
	s_load_dwordx2 s[0:1], s[0:1], 0x0
	v_mad_u64_u32 v[5:6], s[16:17], s20, v0, 0
	v_add_u32_e32 v13, 5, v0
	s_waitcnt lgkmcnt(0)
	v_mul_lo_u32 v11, s1, v3
	v_mul_lo_u32 v12, s0, v4
	v_mad_u64_u32 v[7:8], s[0:1], s0, v3, 0
	v_mad_u64_u32 v[9:10], s[0:1], s21, v0, v[6:7]
	v_add3_u32 v8, v8, v12, v11
	v_lshlrev_b64 v[7:8], 3, v[7:8]
	v_mov_b32_e32 v6, v9
	v_mov_b32_e32 v9, s9
	v_add_co_u32_e64 v11, s[0:1], s8, v7
	v_addc_co_u32_e64 v12, s[0:1], v9, v8, s[0:1]
	v_mad_u64_u32 v[9:10], s[0:1], s20, v13, 0
	v_lshlrev_b64 v[7:8], 3, v[33:34]
	v_lshlrev_b64 v[5:6], 3, v[5:6]
	v_add_co_u32_e64 v14, s[0:1], v11, v7
	v_mov_b32_e32 v7, v10
	v_addc_co_u32_e64 v15, s[0:1], v12, v8, s[0:1]
	v_mad_u64_u32 v[7:8], s[0:1], s21, v13, v[7:8]
	v_add_u32_e32 v8, 10, v0
	v_mad_u64_u32 v[11:12], s[0:1], s20, v8, 0
	v_add_co_u32_e64 v32, s[0:1], v14, v5
	v_mov_b32_e32 v10, v7
	v_mov_b32_e32 v7, v12
	v_addc_co_u32_e64 v33, s[0:1], v15, v6, s[0:1]
	v_lshlrev_b64 v[5:6], 3, v[9:10]
	v_mad_u64_u32 v[7:8], s[0:1], s21, v8, v[7:8]
	v_add_u32_e32 v10, 15, v0
	v_mad_u64_u32 v[8:9], s[0:1], s20, v10, 0
	v_add_co_u32_e64 v34, s[0:1], v14, v5
	v_mov_b32_e32 v12, v7
	v_mov_b32_e32 v7, v9
	v_addc_co_u32_e64 v35, s[0:1], v15, v6, s[0:1]
	v_lshlrev_b64 v[5:6], 3, v[11:12]
	v_mad_u64_u32 v[9:10], s[0:1], s21, v10, v[7:8]
	v_add_u32_e32 v12, 20, v0
	v_mad_u64_u32 v[10:11], s[0:1], s20, v12, 0
	v_add_co_u32_e64 v36, s[0:1], v14, v5
	v_mov_b32_e32 v7, v11
	v_addc_co_u32_e64 v37, s[0:1], v15, v6, s[0:1]
	v_lshlrev_b64 v[5:6], 3, v[8:9]
	v_mad_u64_u32 v[7:8], s[0:1], s21, v12, v[7:8]
	v_add_u32_e32 v12, 25, v0
	v_mad_u64_u32 v[8:9], s[0:1], s20, v12, 0
	v_add_co_u32_e64 v38, s[0:1], v14, v5
	v_mov_b32_e32 v11, v7
	v_mov_b32_e32 v7, v9
	v_addc_co_u32_e64 v39, s[0:1], v15, v6, s[0:1]
	v_lshlrev_b64 v[5:6], 3, v[10:11]
	v_mad_u64_u32 v[9:10], s[0:1], s21, v12, v[7:8]
	v_add_u32_e32 v12, 30, v0
	v_mad_u64_u32 v[10:11], s[0:1], s20, v12, 0
	v_add_co_u32_e64 v40, s[0:1], v14, v5
	v_mov_b32_e32 v7, v11
	v_addc_co_u32_e64 v41, s[0:1], v15, v6, s[0:1]
	v_lshlrev_b64 v[5:6], 3, v[8:9]
	v_mad_u64_u32 v[7:8], s[0:1], s21, v12, v[7:8]
	v_add_u32_e32 v12, 35, v0
	v_mad_u64_u32 v[8:9], s[0:1], s20, v12, 0
	v_add_co_u32_e64 v42, s[0:1], v14, v5
	v_mov_b32_e32 v11, v7
	v_mov_b32_e32 v7, v9
	v_addc_co_u32_e64 v43, s[0:1], v15, v6, s[0:1]
	v_lshlrev_b64 v[5:6], 3, v[10:11]
	v_mad_u64_u32 v[9:10], s[0:1], s21, v12, v[7:8]
	v_or_b32_e32 v12, 40, v0
	v_mad_u64_u32 v[10:11], s[0:1], s20, v12, 0
	v_add_co_u32_e64 v44, s[0:1], v14, v5
	v_mov_b32_e32 v7, v11
	v_addc_co_u32_e64 v45, s[0:1], v15, v6, s[0:1]
	v_lshlrev_b64 v[5:6], 3, v[8:9]
	v_mad_u64_u32 v[7:8], s[0:1], s21, v12, v[7:8]
	v_add_u32_e32 v12, 45, v0
	v_mad_u64_u32 v[8:9], s[0:1], s20, v12, 0
	v_add_co_u32_e64 v46, s[0:1], v14, v5
	v_mov_b32_e32 v11, v7
	v_mov_b32_e32 v7, v9
	v_addc_co_u32_e64 v47, s[0:1], v15, v6, s[0:1]
	v_lshlrev_b64 v[5:6], 3, v[10:11]
	v_mad_u64_u32 v[9:10], s[0:1], s21, v12, v[7:8]
	v_add_u32_e32 v12, 50, v0
	v_mad_u64_u32 v[10:11], s[0:1], s20, v12, 0
	v_add_co_u32_e64 v48, s[0:1], v14, v5
	v_mov_b32_e32 v7, v11
	v_addc_co_u32_e64 v49, s[0:1], v15, v6, s[0:1]
	v_lshlrev_b64 v[5:6], 3, v[8:9]
	v_mad_u64_u32 v[7:8], s[0:1], s21, v12, v[7:8]
	v_add_u32_e32 v12, 55, v0
	v_mad_u64_u32 v[8:9], s[0:1], s20, v12, 0
	v_add_co_u32_e64 v50, s[0:1], v14, v5
	v_mov_b32_e32 v11, v7
	v_mov_b32_e32 v7, v9
	v_addc_co_u32_e64 v51, s[0:1], v15, v6, s[0:1]
	v_lshlrev_b64 v[5:6], 3, v[10:11]
	v_mad_u64_u32 v[9:10], s[0:1], s21, v12, v[7:8]
	v_add_u32_e32 v12, 60, v0
	v_mad_u64_u32 v[10:11], s[0:1], s20, v12, 0
	v_add_co_u32_e64 v52, s[0:1], v14, v5
	v_mov_b32_e32 v7, v11
	v_addc_co_u32_e64 v53, s[0:1], v15, v6, s[0:1]
	v_lshlrev_b64 v[5:6], 3, v[8:9]
	v_mad_u64_u32 v[7:8], s[0:1], s21, v12, v[7:8]
	v_add_co_u32_e64 v54, s[0:1], v14, v5
	v_mov_b32_e32 v11, v7
	v_addc_co_u32_e64 v55, s[0:1], v15, v6, s[0:1]
	v_lshlrev_b64 v[5:6], 3, v[10:11]
	v_add_co_u32_e64 v56, s[0:1], v14, v5
	v_addc_co_u32_e64 v57, s[0:1], v15, v6, s[0:1]
	global_load_dwordx2 v[21:22], v[32:33], off
	global_load_dwordx2 v[27:28], v[34:35], off
	;; [unrolled: 1-line block ×13, first 2 shown]
.LBB0_11:
	s_or_b64 exec, exec, s[14:15]
	v_mov_b32_e32 v35, v0
.LBB0_12:
	s_or_b64 exec, exec, s[6:7]
	s_mov_b32 s0, 0xaf286bcb
	v_mul_hi_u32 v32, v31, s0
	v_cmp_gt_u32_e64 s[0:1], 5, v0
	v_sub_u32_e32 v33, v31, v32
	v_lshrrev_b32_e32 v33, 1, v33
	v_add_u32_e32 v32, v33, v32
	v_lshrrev_b32_e32 v32, 4, v32
	v_mul_lo_u32 v32, v32, 19
	v_sub_u32_e32 v31, v31, v32
	v_mul_u32_u24_e32 v31, 0x41, v31
	v_lshlrev_b32_e32 v36, 2, v31
	s_and_saveexec_b64 s[6:7], s[0:1]
	s_cbranch_execz .LBB0_14
; %bb.13:
	s_waitcnt vmcnt(0)
	v_sub_f32_e32 v48, v28, v30
	v_mul_f32_e32 v32, 0xbe750f2a, v48
	v_sub_f32_e32 v49, v24, v26
	v_add_f32_e32 v41, v27, v29
	v_mov_b32_e32 v31, v32
	v_mul_f32_e32 v33, 0x3eedf032, v49
	v_fmac_f32_e32 v31, 0xbf788fa5, v41
	v_add_f32_e32 v42, v23, v25
	v_mov_b32_e32 v34, v33
	v_add_f32_e32 v31, v21, v31
	v_fmac_f32_e32 v34, 0x3f62ad3f, v42
	v_sub_f32_e32 v50, v20, v18
	v_add_f32_e32 v31, v31, v34
	v_mul_f32_e32 v34, 0xbf29c268, v50
	v_add_f32_e32 v44, v19, v17
	v_mov_b32_e32 v37, v34
	v_fmac_f32_e32 v37, 0xbf3f9e67, v44
	v_sub_f32_e32 v51, v16, v14
	v_add_f32_e32 v31, v31, v37
	v_mul_f32_e32 v37, 0x3f52af12, v51
	s_mov_b32 s8, 0xbf788fa5
	v_add_f32_e32 v43, v15, v13
	v_mov_b32_e32 v38, v37
	s_mov_b32 s14, 0x3f62ad3f
	v_fmac_f32_e32 v38, 0x3f116cb1, v43
	v_sub_f32_e32 v53, v10, v12
	v_fma_f32 v32, v41, s8, -v32
	s_mov_b32 s9, 0xbf3f9e67
	v_add_f32_e32 v31, v31, v38
	v_mul_f32_e32 v38, 0xbf6f5d39, v53
	v_add_f32_e32 v32, v21, v32
	v_fma_f32 v33, v42, s14, -v33
	s_mov_b32 s16, 0x3f116cb1
	v_add_f32_e32 v46, v9, v11
	v_mov_b32_e32 v39, v38
	v_add_f32_e32 v32, v32, v33
	v_fma_f32 v33, v44, s9, -v34
	s_mov_b32 s15, 0xbeb58ec6
	v_fmac_f32_e32 v39, 0xbeb58ec6, v46
	v_sub_f32_e32 v54, v6, v8
	v_add_f32_e32 v32, v32, v33
	v_fma_f32 v33, v43, s16, -v37
	v_add_f32_e32 v31, v31, v39
	v_add_f32_e32 v45, v5, v7
	v_mul_f32_e32 v39, 0x3f7e222b, v54
	s_mov_b32 s17, 0x3df6dbef
	v_add_f32_e32 v32, v32, v33
	v_fma_f32 v33, v46, s15, -v38
	v_add_f32_e32 v32, v32, v33
	v_fma_f32 v33, v45, s17, -v39
	v_mul_f32_e32 v34, 0xbf29c268, v48
	v_add_f32_e32 v32, v32, v33
	v_mov_b32_e32 v33, v34
	v_mul_f32_e32 v37, 0x3f7e222b, v49
	v_fmac_f32_e32 v33, 0xbf3f9e67, v41
	v_mov_b32_e32 v38, v37
	v_add_f32_e32 v33, v21, v33
	v_fmac_f32_e32 v38, 0x3df6dbef, v42
	v_add_f32_e32 v33, v33, v38
	v_mul_f32_e32 v38, 0xbf52af12, v50
	v_mov_b32_e32 v40, v39
	v_mov_b32_e32 v39, v38
	v_fmac_f32_e32 v39, 0x3f116cb1, v44
	v_fmac_f32_e32 v40, 0x3df6dbef, v45
	v_add_f32_e32 v33, v33, v39
	v_mul_f32_e32 v39, 0x3e750f2a, v51
	v_add_f32_e32 v31, v31, v40
	v_mov_b32_e32 v40, v39
	v_fmac_f32_e32 v40, 0xbf788fa5, v43
	v_fma_f32 v34, v41, s9, -v34
	v_add_f32_e32 v33, v33, v40
	v_mul_f32_e32 v40, 0x3eedf032, v53
	v_add_f32_e32 v34, v21, v34
	v_fma_f32 v37, v42, s17, -v37
	v_mov_b32_e32 v47, v40
	v_add_f32_e32 v34, v34, v37
	v_fma_f32 v37, v44, s16, -v38
	v_fmac_f32_e32 v47, 0x3f62ad3f, v46
	v_add_f32_e32 v34, v34, v37
	v_fma_f32 v37, v43, s8, -v39
	v_add_f32_e32 v33, v33, v47
	v_mul_f32_e32 v47, 0xbf6f5d39, v54
	v_add_f32_e32 v34, v34, v37
	v_fma_f32 v37, v46, s14, -v40
	v_add_f32_e32 v34, v34, v37
	v_fma_f32 v37, v45, s15, -v47
	v_add_f32_e32 v39, v34, v37
	v_mul_f32_e32 v37, 0xbf6f5d39, v48
	v_mov_b32_e32 v34, v37
	v_mul_f32_e32 v38, 0x3f29c268, v49
	v_fmac_f32_e32 v34, 0xbeb58ec6, v41
	v_mov_b32_e32 v40, v38
	v_add_f32_e32 v34, v21, v34
	v_fmac_f32_e32 v40, 0xbf3f9e67, v42
	v_add_f32_e32 v34, v34, v40
	v_mul_f32_e32 v40, 0x3eedf032, v50
	v_mov_b32_e32 v52, v47
	v_mov_b32_e32 v47, v40
	v_fmac_f32_e32 v47, 0x3f62ad3f, v44
	v_fmac_f32_e32 v52, 0xbeb58ec6, v45
	v_add_f32_e32 v34, v34, v47
	v_mul_f32_e32 v47, 0xbf7e222b, v51
	v_add_f32_e32 v33, v33, v52
	v_mov_b32_e32 v52, v47
	v_fmac_f32_e32 v52, 0x3df6dbef, v43
	v_fma_f32 v37, v41, s15, -v37
	v_add_f32_e32 v34, v34, v52
	v_mul_f32_e32 v52, 0x3e750f2a, v53
	v_add_f32_e32 v37, v21, v37
	v_fma_f32 v38, v42, s9, -v38
	v_mov_b32_e32 v55, v52
	v_add_f32_e32 v37, v37, v38
	v_fma_f32 v38, v44, s14, -v40
	v_fmac_f32_e32 v55, 0xbf788fa5, v46
	v_add_f32_e32 v37, v37, v38
	v_fma_f32 v38, v43, s17, -v47
	v_add_f32_e32 v34, v34, v55
	v_mul_f32_e32 v55, 0x3f52af12, v54
	v_add_f32_e32 v37, v37, v38
	v_fma_f32 v38, v46, s8, -v52
	v_add_f32_e32 v37, v37, v38
	v_fma_f32 v38, v45, s16, -v55
	v_add_f32_e32 v40, v37, v38
	v_mul_f32_e32 v38, 0xbf7e222b, v48
	v_mov_b32_e32 v37, v38
	v_mul_f32_e32 v47, 0xbe750f2a, v49
	v_fmac_f32_e32 v37, 0x3df6dbef, v41
	v_mov_b32_e32 v52, v47
	v_add_f32_e32 v37, v21, v37
	v_fmac_f32_e32 v52, 0xbf788fa5, v42
	v_add_f32_e32 v37, v37, v52
	v_mul_f32_e32 v52, 0x3f6f5d39, v50
	v_mov_b32_e32 v56, v55
	v_mov_b32_e32 v55, v52
	v_fmac_f32_e32 v55, 0xbeb58ec6, v44
	v_fmac_f32_e32 v56, 0x3f116cb1, v45
	v_add_f32_e32 v37, v37, v55
	v_mul_f32_e32 v55, 0x3eedf032, v51
	v_add_f32_e32 v34, v34, v56
	v_mov_b32_e32 v56, v55
	v_fmac_f32_e32 v56, 0x3f62ad3f, v43
	v_fma_f32 v38, v41, s17, -v38
	v_add_f32_e32 v37, v37, v56
	v_mul_f32_e32 v56, 0xbf52af12, v53
	v_add_f32_e32 v38, v21, v38
	v_fma_f32 v47, v42, s8, -v47
	v_mov_b32_e32 v57, v56
	v_add_f32_e32 v38, v38, v47
	v_fma_f32 v47, v44, s15, -v52
	v_fmac_f32_e32 v57, 0x3f116cb1, v46
	v_add_f32_e32 v38, v38, v47
	v_fma_f32 v47, v43, s14, -v55
	v_add_f32_e32 v37, v37, v57
	v_mul_f32_e32 v57, 0xbf29c268, v54
	v_add_f32_e32 v38, v38, v47
	v_fma_f32 v47, v46, s16, -v56
	v_add_f32_e32 v38, v38, v47
	v_fma_f32 v47, v45, s9, -v57
	v_mul_f32_e32 v52, 0xbf52af12, v48
	v_add_f32_e32 v47, v38, v47
	v_mov_b32_e32 v38, v52
	v_mul_f32_e32 v55, 0xbf6f5d39, v49
	v_fmac_f32_e32 v38, 0x3f116cb1, v41
	v_mov_b32_e32 v56, v55
	v_add_f32_e32 v38, v21, v38
	v_fmac_f32_e32 v56, 0xbeb58ec6, v42
	v_add_f32_e32 v38, v38, v56
	v_mul_f32_e32 v56, 0xbe750f2a, v50
	v_mov_b32_e32 v58, v57
	v_mov_b32_e32 v57, v56
	v_fmac_f32_e32 v57, 0xbf788fa5, v44
	v_fmac_f32_e32 v58, 0xbf3f9e67, v45
	v_add_f32_e32 v38, v38, v57
	v_mul_f32_e32 v57, 0x3f29c268, v51
	v_add_f32_e32 v37, v37, v58
	v_mov_b32_e32 v58, v57
	v_fmac_f32_e32 v58, 0xbf3f9e67, v43
	v_fma_f32 v52, v41, s16, -v52
	v_add_f32_e32 v38, v38, v58
	v_mul_f32_e32 v58, 0x3f7e222b, v53
	v_add_f32_e32 v52, v21, v52
	v_fma_f32 v55, v42, s15, -v55
	v_mov_b32_e32 v59, v58
	v_add_f32_e32 v52, v52, v55
	v_fma_f32 v55, v44, s8, -v56
	v_fmac_f32_e32 v59, 0x3df6dbef, v46
	v_add_f32_e32 v52, v52, v55
	v_fma_f32 v55, v43, s9, -v57
	v_add_f32_e32 v38, v38, v59
	v_mul_f32_e32 v59, 0x3eedf032, v54
	v_add_f32_e32 v52, v52, v55
	v_fma_f32 v55, v46, s17, -v58
	v_add_f32_e32 v52, v52, v55
	v_fma_f32 v55, v45, s14, -v59
	v_mul_f32_e32 v48, 0xbeedf032, v48
	v_add_f32_e32 v52, v52, v55
	v_mov_b32_e32 v55, v48
	v_fmac_f32_e32 v55, 0x3f62ad3f, v41
	v_fma_f32 v41, v41, s14, -v48
	v_add_f32_e32 v55, v21, v55
	v_add_f32_e32 v41, v21, v41
	;; [unrolled: 1-line block ×3, first 2 shown]
	v_mul_f32_e32 v49, 0xbf52af12, v49
	v_add_f32_e32 v21, v21, v23
	v_mov_b32_e32 v56, v49
	v_add_f32_e32 v21, v21, v19
	v_fmac_f32_e32 v56, 0x3f116cb1, v42
	v_mul_f32_e32 v50, 0xbf7e222b, v50
	v_add_f32_e32 v21, v21, v15
	v_add_f32_e32 v55, v55, v56
	v_mov_b32_e32 v56, v50
	v_add_f32_e32 v21, v21, v9
	v_fmac_f32_e32 v56, 0x3df6dbef, v44
	v_mul_f32_e32 v51, 0xbf6f5d39, v51
	v_fma_f32 v42, v42, s16, -v49
	v_add_f32_e32 v21, v21, v5
	v_add_f32_e32 v55, v55, v56
	v_mov_b32_e32 v56, v51
	v_add_f32_e32 v41, v41, v42
	v_fma_f32 v42, v44, s17, -v50
	v_add_f32_e32 v21, v21, v7
	v_fmac_f32_e32 v56, 0xbeb58ec6, v43
	v_mul_f32_e32 v53, 0xbf29c268, v53
	v_add_f32_e32 v41, v41, v42
	v_fma_f32 v42, v43, s15, -v51
	v_add_f32_e32 v21, v11, v21
	v_add_f32_e32 v55, v55, v56
	v_mov_b32_e32 v56, v53
	v_mul_f32_e32 v54, 0xbe750f2a, v54
	v_add_f32_e32 v41, v41, v42
	v_fma_f32 v42, v46, s9, -v53
	v_add_f32_e32 v21, v13, v21
	v_fmac_f32_e32 v56, 0xbf3f9e67, v46
	v_add_f32_e32 v41, v41, v42
	v_fma_f32 v42, v45, s8, -v54
	v_add_f32_e32 v21, v17, v21
	v_mov_b32_e32 v60, v59
	v_add_f32_e32 v55, v55, v56
	v_mov_b32_e32 v56, v54
	v_add_f32_e32 v41, v41, v42
	v_add_f32_e32 v21, v25, v21
	v_mul_u32_u24_e32 v42, 52, v0
	v_fmac_f32_e32 v60, 0x3f62ad3f, v45
	v_fmac_f32_e32 v56, 0xbf788fa5, v45
	v_add_f32_e32 v21, v29, v21
	v_add3_u32 v42, 0, v42, v36
	v_add_f32_e32 v38, v38, v60
	v_add_f32_e32 v55, v55, v56
	ds_write2_b32 v42, v21, v41 offset1:1
	ds_write2_b32 v42, v52, v47 offset0:2 offset1:3
	ds_write2_b32 v42, v40, v39 offset0:4 offset1:5
	;; [unrolled: 1-line block ×5, first 2 shown]
	ds_write_b32 v42, v55 offset:48
.LBB0_14:
	s_or_b64 exec, exec, s[6:7]
	s_waitcnt vmcnt(12)
	v_lshlrev_b32_e32 v21, 2, v0
	v_add_u32_e32 v40, 0, v21
	v_add3_u32 v38, 0, v36, v21
	v_add_u32_e32 v39, v40, v36
	s_waitcnt vmcnt(0) lgkmcnt(0)
	s_barrier
	ds_read_b32 v37, v38
	ds_read2_b32 v[31:32], v39 offset0:13 offset1:26
	ds_read2_b32 v[33:34], v39 offset0:39 offset1:52
	s_waitcnt lgkmcnt(0)
	s_barrier
	s_and_saveexec_b64 s[6:7], s[0:1]
	s_cbranch_execz .LBB0_16
; %bb.15:
	v_add_f32_e32 v41, v22, v28
	v_add_f32_e32 v41, v41, v24
	;; [unrolled: 1-line block ×9, first 2 shown]
	v_sub_f32_e32 v27, v27, v29
	v_add_f32_e32 v41, v18, v41
	v_mul_f32_e32 v29, 0xbeedf032, v27
	v_mul_f32_e32 v42, 0xbf52af12, v27
	;; [unrolled: 1-line block ×6, first 2 shown]
	v_add_f32_e32 v41, v26, v41
	v_add_f32_e32 v28, v28, v30
	s_mov_b32 s8, 0x3f62ad3f
	s_mov_b32 s1, 0x3f116cb1
	;; [unrolled: 1-line block ×6, first 2 shown]
	v_mov_b32_e32 v50, v27
	v_sub_f32_e32 v23, v23, v25
	v_add_f32_e32 v41, v30, v41
	v_fma_f32 v30, v28, s8, -v29
	v_fmac_f32_e32 v29, 0x3f62ad3f, v28
	v_fma_f32 v43, v28, s1, -v42
	v_fmac_f32_e32 v42, 0x3f116cb1, v28
	v_fma_f32 v45, v28, s0, -v44
	v_fmac_f32_e32 v44, 0x3df6dbef, v28
	v_fma_f32 v47, v28, s9, -v46
	v_fmac_f32_e32 v46, 0xbeb58ec6, v28
	v_fma_f32 v49, v28, s14, -v48
	v_fmac_f32_e32 v48, 0xbf3f9e67, v28
	v_fmac_f32_e32 v50, 0xbf788fa5, v28
	v_fma_f32 v27, v28, s15, -v27
	v_add_f32_e32 v24, v24, v26
	v_mul_f32_e32 v25, 0xbf52af12, v23
	v_add_f32_e32 v29, v22, v29
	v_add_f32_e32 v30, v22, v30
	;; [unrolled: 1-line block ×12, first 2 shown]
	v_fma_f32 v26, v24, s1, -v25
	v_fmac_f32_e32 v25, 0x3f116cb1, v24
	v_mul_f32_e32 v27, 0xbf6f5d39, v23
	v_add_f32_e32 v25, v29, v25
	v_fma_f32 v28, v24, s9, -v27
	v_fmac_f32_e32 v27, 0xbeb58ec6, v24
	v_mul_f32_e32 v29, 0xbe750f2a, v23
	v_add_f32_e32 v26, v30, v26
	v_add_f32_e32 v27, v42, v27
	v_fma_f32 v30, v24, s15, -v29
	v_fmac_f32_e32 v29, 0xbf788fa5, v24
	v_mul_f32_e32 v42, 0x3f29c268, v23
	v_add_f32_e32 v28, v43, v28
	v_add_f32_e32 v29, v44, v29
	v_fma_f32 v43, v24, s14, -v42
	v_fmac_f32_e32 v42, 0xbf3f9e67, v24
	v_mul_f32_e32 v44, 0x3f7e222b, v23
	v_mul_f32_e32 v23, 0x3eedf032, v23
	v_sub_f32_e32 v17, v19, v17
	v_add_f32_e32 v42, v46, v42
	v_mov_b32_e32 v46, v23
	v_fma_f32 v23, v24, s8, -v23
	v_add_f32_e32 v18, v20, v18
	v_mul_f32_e32 v19, 0xbf7e222b, v17
	v_add_f32_e32 v22, v22, v23
	v_fma_f32 v20, v18, s0, -v19
	v_fmac_f32_e32 v19, 0x3df6dbef, v18
	v_mul_f32_e32 v23, 0xbe750f2a, v17
	v_add_f32_e32 v30, v45, v30
	v_fma_f32 v45, v24, s0, -v44
	v_fmac_f32_e32 v44, 0x3df6dbef, v24
	v_fmac_f32_e32 v46, 0x3f62ad3f, v24
	v_add_f32_e32 v19, v25, v19
	v_fma_f32 v24, v18, s15, -v23
	v_fmac_f32_e32 v23, 0xbf788fa5, v18
	v_mul_f32_e32 v25, 0x3f6f5d39, v17
	v_add_f32_e32 v20, v26, v20
	v_add_f32_e32 v23, v27, v23
	v_fma_f32 v26, v18, s9, -v25
	v_fmac_f32_e32 v25, 0xbeb58ec6, v18
	v_mul_f32_e32 v27, 0x3eedf032, v17
	v_add_f32_e32 v24, v28, v24
	v_add_f32_e32 v25, v29, v25
	v_fma_f32 v28, v18, s8, -v27
	v_fmac_f32_e32 v27, 0x3f62ad3f, v18
	v_mul_f32_e32 v29, 0xbf52af12, v17
	v_mul_f32_e32 v17, 0xbf29c268, v17
	v_sub_f32_e32 v13, v15, v13
	v_add_f32_e32 v27, v42, v27
	v_mov_b32_e32 v42, v17
	v_add_f32_e32 v14, v16, v14
	v_mul_f32_e32 v15, 0xbf6f5d39, v13
	v_add_f32_e32 v26, v30, v26
	v_fma_f32 v30, v18, s1, -v29
	v_fmac_f32_e32 v29, 0x3f116cb1, v18
	v_fmac_f32_e32 v42, 0xbf3f9e67, v18
	v_fma_f32 v17, v18, s14, -v17
	v_fma_f32 v16, v14, s9, -v15
	v_fmac_f32_e32 v15, 0xbeb58ec6, v14
	v_mul_f32_e32 v18, 0x3f29c268, v13
	v_add_f32_e32 v15, v19, v15
	v_add_f32_e32 v16, v20, v16
	v_fma_f32 v19, v14, s14, -v18
	v_fmac_f32_e32 v18, 0xbf3f9e67, v14
	v_mul_f32_e32 v20, 0x3eedf032, v13
	v_add_f32_e32 v17, v22, v17
	v_add_f32_e32 v18, v23, v18
	v_fma_f32 v22, v14, s8, -v20
	v_fmac_f32_e32 v20, 0x3f62ad3f, v14
	v_mul_f32_e32 v23, 0xbf7e222b, v13
	v_add_f32_e32 v19, v24, v19
	v_add_f32_e32 v20, v25, v20
	v_fma_f32 v24, v14, s0, -v23
	v_fmac_f32_e32 v23, 0x3df6dbef, v14
	v_mul_f32_e32 v25, 0x3e750f2a, v13
	v_mul_f32_e32 v13, 0x3f52af12, v13
	v_sub_f32_e32 v9, v9, v11
	v_add_f32_e32 v23, v27, v23
	v_mov_b32_e32 v27, v13
	v_add_f32_e32 v10, v10, v12
	v_mul_f32_e32 v11, 0xbf29c268, v9
	v_add_f32_e32 v22, v26, v22
	v_fma_f32 v26, v14, s15, -v25
	v_fmac_f32_e32 v25, 0xbf788fa5, v14
	v_fmac_f32_e32 v27, 0x3f116cb1, v14
	v_fma_f32 v13, v14, s1, -v13
	v_fma_f32 v12, v10, s14, -v11
	v_fmac_f32_e32 v11, 0xbf3f9e67, v10
	v_mul_f32_e32 v14, 0x3f7e222b, v9
	v_add_f32_e32 v11, v15, v11
	;; [unrolled: 29-line block ×3, first 2 shown]
	v_add_f32_e32 v8, v12, v8
	v_fma_f32 v11, v6, s8, -v10
	v_fmac_f32_e32 v10, 0x3f62ad3f, v6
	v_mul_f32_e32 v12, 0xbf29c268, v5
	v_add_f32_e32 v43, v47, v43
	v_add_f32_e32 v44, v48, v44
	;; [unrolled: 1-line block ×6, first 2 shown]
	v_fma_f32 v13, v6, s14, -v12
	v_fmac_f32_e32 v12, 0xbf3f9e67, v6
	v_mul_f32_e32 v14, 0x3f52af12, v5
	v_add_f32_e32 v28, v43, v28
	v_add_f32_e32 v29, v44, v29
	;; [unrolled: 1-line block ×6, first 2 shown]
	v_fma_f32 v15, v6, s1, -v14
	v_fmac_f32_e32 v14, 0x3f116cb1, v6
	v_mul_f32_e32 v16, 0xbf6f5d39, v5
	v_mul_f32_e32 v5, 0x3f7e222b, v5
	v_add_f32_e32 v24, v28, v24
	v_add_f32_e32 v25, v29, v25
	;; [unrolled: 1-line block ×5, first 2 shown]
	v_mov_b32_e32 v18, v5
	v_mul_u32_u24_e32 v0, 48, v0
	v_add_f32_e32 v19, v24, v19
	v_add_f32_e32 v20, v25, v20
	;; [unrolled: 1-line block ×5, first 2 shown]
	v_fma_f32 v17, v6, s9, -v16
	v_fmac_f32_e32 v16, 0xbeb58ec6, v6
	v_fmac_f32_e32 v18, 0x3df6dbef, v6
	v_fma_f32 v5, v6, s0, -v5
	v_add3_u32 v0, v40, v0, v36
	v_add_f32_e32 v15, v19, v15
	v_add_f32_e32 v16, v20, v16
	;; [unrolled: 1-line block ×5, first 2 shown]
	ds_write2_b32 v0, v41, v7 offset1:1
	ds_write2_b32 v0, v10, v12 offset0:2 offset1:3
	ds_write2_b32 v0, v14, v16 offset0:4 offset1:5
	;; [unrolled: 1-line block ×5, first 2 shown]
	ds_write_b32 v0, v8 offset:48
.LBB0_16:
	s_or_b64 exec, exec, s[6:7]
	s_waitcnt lgkmcnt(0)
	s_barrier
	s_and_saveexec_b64 s[0:1], vcc
	s_cbranch_execz .LBB0_18
; %bb.17:
	v_mov_b32_e32 v22, 0
	v_lshlrev_b64 v[5:6], 3, v[21:22]
	v_mov_b32_e32 v0, s13
	v_add_co_u32_e32 v13, vcc, s12, v5
	v_addc_co_u32_e32 v14, vcc, v0, v6, vcc
	global_load_dwordx4 v[5:8], v[13:14], off
	global_load_dwordx4 v[9:12], v[13:14], off offset:16
	v_mul_lo_u32 v0, s5, v3
	v_mul_lo_u32 v19, s4, v4
	v_mad_u64_u32 v[3:4], s[0:1], s4, v3, 0
	ds_read2_b32 v[13:14], v39 offset0:13 offset1:26
	ds_read2_b32 v[15:16], v39 offset0:39 offset1:52
	ds_read_b32 v20, v38
	v_mad_u64_u32 v[17:18], s[0:1], s2, v35, 0
	v_add3_u32 v4, v4, v19, v0
	v_lshlrev_b64 v[3:4], 3, v[3:4]
	v_add_co_u32_e32 v3, vcc, s10, v3
	s_waitcnt vmcnt(1)
	v_mul_f32_e32 v0, v31, v6
	v_mul_f32_e32 v19, v32, v8
	s_waitcnt vmcnt(0)
	v_mul_f32_e32 v21, v34, v12
	v_mul_f32_e32 v22, v33, v10
	s_waitcnt lgkmcnt(2)
	v_mul_f32_e32 v8, v14, v8
	s_waitcnt lgkmcnt(1)
	v_mul_f32_e32 v10, v15, v10
	v_mul_f32_e32 v6, v13, v6
	;; [unrolled: 1-line block ×3, first 2 shown]
	v_fmac_f32_e32 v0, v13, v5
	v_fmac_f32_e32 v19, v14, v7
	;; [unrolled: 1-line block ×4, first 2 shown]
	v_fma_f32 v13, v32, v7, -v8
	v_fma_f32 v23, v33, v9, -v10
	;; [unrolled: 1-line block ×4, first 2 shown]
	v_sub_f32_e32 v6, v0, v19
	v_sub_f32_e32 v7, v21, v22
	v_add_f32_e32 v8, v19, v22
	v_sub_f32_e32 v25, v0, v21
	v_sub_f32_e32 v12, v19, v0
	v_add_f32_e32 v27, v0, v21
	s_waitcnt lgkmcnt(0)
	v_add_f32_e32 v0, v0, v20
	v_sub_f32_e32 v9, v5, v13
	v_sub_f32_e32 v10, v24, v23
	;; [unrolled: 1-line block ×3, first 2 shown]
	v_add_f32_e32 v32, v6, v7
	v_fma_f32 v6, -0.5, v8, v20
	v_fma_f32 v8, -0.5, v27, v20
	v_add_f32_e32 v0, v19, v0
	v_sub_f32_e32 v15, v13, v23
	v_sub_f32_e32 v16, v5, v24
	v_add_f32_e32 v33, v9, v10
	v_add_f32_e32 v34, v12, v14
	v_mov_b32_e32 v10, v6
	v_mov_b32_e32 v12, v8
	v_add_f32_e32 v0, v22, v0
	v_add_f32_e32 v31, v37, v5
	v_fmac_f32_e32 v8, 0x3f737871, v15
	v_fmac_f32_e32 v6, 0xbf737871, v16
	;; [unrolled: 1-line block ×4, first 2 shown]
	v_add_f32_e32 v14, v21, v0
	v_mov_b32_e32 v0, v18
	v_fmac_f32_e32 v8, 0xbf167918, v16
	v_fmac_f32_e32 v6, 0xbf167918, v15
	;; [unrolled: 1-line block ×4, first 2 shown]
	v_mad_u64_u32 v[15:16], s[0:1], s3, v35, v[0:1]
	v_add_f32_e32 v0, v31, v13
	v_add_f32_e32 v30, v5, v24
	;; [unrolled: 1-line block ×4, first 2 shown]
	v_sub_f32_e32 v28, v13, v5
	v_fma_f32 v7, -0.5, v30, v37
	v_add_f32_e32 v13, v24, v0
	v_mov_b32_e32 v0, s11
	v_sub_f32_e32 v26, v19, v22
	v_fma_f32 v5, -0.5, v11, v37
	v_mov_b32_e32 v11, v7
	v_addc_co_u32_e32 v4, vcc, v0, v4, vcc
	v_lshlrev_b64 v[0:1], 3, v[1:2]
	v_sub_f32_e32 v29, v23, v24
	v_fmac_f32_e32 v7, 0xbf737871, v26
	v_fmac_f32_e32 v11, 0x3f737871, v26
	v_add_f32_e32 v20, v28, v29
	v_fmac_f32_e32 v7, 0x3f167918, v25
	v_fmac_f32_e32 v11, 0xbf167918, v25
	v_add_co_u32_e32 v19, vcc, v3, v0
	v_fmac_f32_e32 v7, 0x3e9e377a, v20
	v_fmac_f32_e32 v11, 0x3e9e377a, v20
	v_addc_co_u32_e32 v20, vcc, v4, v1, vcc
	v_add_u32_e32 v4, 13, v35
	v_mad_u64_u32 v[2:3], s[0:1], s2, v4, 0
	v_mov_b32_e32 v18, v15
	v_lshlrev_b64 v[0:1], 3, v[17:18]
	v_mad_u64_u32 v[3:4], s[0:1], s3, v4, v[3:4]
	v_add_u32_e32 v4, 26, v35
	v_mad_u64_u32 v[15:16], s[0:1], s2, v4, 0
	v_add_co_u32_e32 v0, vcc, v19, v0
	v_addc_co_u32_e32 v1, vcc, v20, v1, vcc
	global_store_dwordx2 v[0:1], v[13:14], off
	v_lshlrev_b64 v[0:1], 3, v[2:3]
	v_mov_b32_e32 v2, v16
	v_mad_u64_u32 v[2:3], s[0:1], s3, v4, v[2:3]
	v_add_u32_e32 v4, 39, v35
	v_mov_b32_e32 v9, v5
	v_mov_b32_e32 v16, v2
	v_mad_u64_u32 v[2:3], s[0:1], s2, v4, 0
	v_fmac_f32_e32 v5, 0x3f737871, v25
	v_fmac_f32_e32 v5, 0x3f167918, v26
	v_add_co_u32_e32 v0, vcc, v19, v0
	v_fmac_f32_e32 v6, 0x3e9e377a, v32
	v_fmac_f32_e32 v5, 0x3e9e377a, v33
	v_addc_co_u32_e32 v1, vcc, v20, v1, vcc
	global_store_dwordx2 v[0:1], v[5:6], off
	v_mad_u64_u32 v[3:4], s[0:1], s3, v4, v[3:4]
	v_add_u32_e32 v6, 52, v35
	v_lshlrev_b64 v[0:1], 3, v[15:16]
	v_mad_u64_u32 v[4:5], s[0:1], s2, v6, 0
	v_add_co_u32_e32 v0, vcc, v19, v0
	v_fmac_f32_e32 v8, 0x3e9e377a, v34
	v_addc_co_u32_e32 v1, vcc, v20, v1, vcc
	global_store_dwordx2 v[0:1], v[7:8], off
	v_lshlrev_b64 v[0:1], 3, v[2:3]
	v_mov_b32_e32 v2, v5
	v_mad_u64_u32 v[2:3], s[0:1], s3, v6, v[2:3]
	v_add_co_u32_e32 v0, vcc, v19, v0
	v_fmac_f32_e32 v12, 0x3e9e377a, v34
	v_addc_co_u32_e32 v1, vcc, v20, v1, vcc
	v_mov_b32_e32 v5, v2
	global_store_dwordx2 v[0:1], v[11:12], off
	v_lshlrev_b64 v[0:1], 3, v[4:5]
	v_fmac_f32_e32 v9, 0xbf737871, v25
	v_fmac_f32_e32 v9, 0xbf167918, v26
	v_add_co_u32_e32 v0, vcc, v19, v0
	v_fmac_f32_e32 v10, 0x3e9e377a, v32
	v_fmac_f32_e32 v9, 0x3e9e377a, v33
	v_addc_co_u32_e32 v1, vcc, v20, v1, vcc
	global_store_dwordx2 v[0:1], v[9:10], off
.LBB0_18:
	s_endpgm
	.section	.rodata,"a",@progbits
	.p2align	6, 0x0
	.amdhsa_kernel fft_rtc_fwd_len65_factors_13_5_wgs_247_tpt_13_halfLds_sp_op_CI_CI_sbrr_dirReg
		.amdhsa_group_segment_fixed_size 0
		.amdhsa_private_segment_fixed_size 0
		.amdhsa_kernarg_size 104
		.amdhsa_user_sgpr_count 6
		.amdhsa_user_sgpr_private_segment_buffer 1
		.amdhsa_user_sgpr_dispatch_ptr 0
		.amdhsa_user_sgpr_queue_ptr 0
		.amdhsa_user_sgpr_kernarg_segment_ptr 1
		.amdhsa_user_sgpr_dispatch_id 0
		.amdhsa_user_sgpr_flat_scratch_init 0
		.amdhsa_user_sgpr_private_segment_size 0
		.amdhsa_uses_dynamic_stack 0
		.amdhsa_system_sgpr_private_segment_wavefront_offset 0
		.amdhsa_system_sgpr_workgroup_id_x 1
		.amdhsa_system_sgpr_workgroup_id_y 0
		.amdhsa_system_sgpr_workgroup_id_z 0
		.amdhsa_system_sgpr_workgroup_info 0
		.amdhsa_system_vgpr_workitem_id 0
		.amdhsa_next_free_vgpr 61
		.amdhsa_next_free_sgpr 32
		.amdhsa_reserve_vcc 1
		.amdhsa_reserve_flat_scratch 0
		.amdhsa_float_round_mode_32 0
		.amdhsa_float_round_mode_16_64 0
		.amdhsa_float_denorm_mode_32 3
		.amdhsa_float_denorm_mode_16_64 3
		.amdhsa_dx10_clamp 1
		.amdhsa_ieee_mode 1
		.amdhsa_fp16_overflow 0
		.amdhsa_exception_fp_ieee_invalid_op 0
		.amdhsa_exception_fp_denorm_src 0
		.amdhsa_exception_fp_ieee_div_zero 0
		.amdhsa_exception_fp_ieee_overflow 0
		.amdhsa_exception_fp_ieee_underflow 0
		.amdhsa_exception_fp_ieee_inexact 0
		.amdhsa_exception_int_div_zero 0
	.end_amdhsa_kernel
	.text
.Lfunc_end0:
	.size	fft_rtc_fwd_len65_factors_13_5_wgs_247_tpt_13_halfLds_sp_op_CI_CI_sbrr_dirReg, .Lfunc_end0-fft_rtc_fwd_len65_factors_13_5_wgs_247_tpt_13_halfLds_sp_op_CI_CI_sbrr_dirReg
                                        ; -- End function
	.section	.AMDGPU.csdata,"",@progbits
; Kernel info:
; codeLenInByte = 5980
; NumSgprs: 36
; NumVgprs: 61
; ScratchSize: 0
; MemoryBound: 0
; FloatMode: 240
; IeeeMode: 1
; LDSByteSize: 0 bytes/workgroup (compile time only)
; SGPRBlocks: 4
; VGPRBlocks: 15
; NumSGPRsForWavesPerEU: 36
; NumVGPRsForWavesPerEU: 61
; Occupancy: 4
; WaveLimiterHint : 1
; COMPUTE_PGM_RSRC2:SCRATCH_EN: 0
; COMPUTE_PGM_RSRC2:USER_SGPR: 6
; COMPUTE_PGM_RSRC2:TRAP_HANDLER: 0
; COMPUTE_PGM_RSRC2:TGID_X_EN: 1
; COMPUTE_PGM_RSRC2:TGID_Y_EN: 0
; COMPUTE_PGM_RSRC2:TGID_Z_EN: 0
; COMPUTE_PGM_RSRC2:TIDIG_COMP_CNT: 0
	.type	__hip_cuid_16811b008498a6ac,@object ; @__hip_cuid_16811b008498a6ac
	.section	.bss,"aw",@nobits
	.globl	__hip_cuid_16811b008498a6ac
__hip_cuid_16811b008498a6ac:
	.byte	0                               ; 0x0
	.size	__hip_cuid_16811b008498a6ac, 1

	.ident	"AMD clang version 19.0.0git (https://github.com/RadeonOpenCompute/llvm-project roc-6.4.0 25133 c7fe45cf4b819c5991fe208aaa96edf142730f1d)"
	.section	".note.GNU-stack","",@progbits
	.addrsig
	.addrsig_sym __hip_cuid_16811b008498a6ac
	.amdgpu_metadata
---
amdhsa.kernels:
  - .args:
      - .actual_access:  read_only
        .address_space:  global
        .offset:         0
        .size:           8
        .value_kind:     global_buffer
      - .offset:         8
        .size:           8
        .value_kind:     by_value
      - .actual_access:  read_only
        .address_space:  global
        .offset:         16
        .size:           8
        .value_kind:     global_buffer
      - .actual_access:  read_only
        .address_space:  global
        .offset:         24
        .size:           8
        .value_kind:     global_buffer
      - .actual_access:  read_only
        .address_space:  global
        .offset:         32
        .size:           8
        .value_kind:     global_buffer
      - .offset:         40
        .size:           8
        .value_kind:     by_value
      - .actual_access:  read_only
        .address_space:  global
        .offset:         48
        .size:           8
        .value_kind:     global_buffer
      - .actual_access:  read_only
        .address_space:  global
        .offset:         56
        .size:           8
        .value_kind:     global_buffer
      - .offset:         64
        .size:           4
        .value_kind:     by_value
      - .actual_access:  read_only
        .address_space:  global
        .offset:         72
        .size:           8
        .value_kind:     global_buffer
      - .actual_access:  read_only
        .address_space:  global
        .offset:         80
        .size:           8
        .value_kind:     global_buffer
      - .actual_access:  read_only
        .address_space:  global
        .offset:         88
        .size:           8
        .value_kind:     global_buffer
      - .actual_access:  write_only
        .address_space:  global
        .offset:         96
        .size:           8
        .value_kind:     global_buffer
    .group_segment_fixed_size: 0
    .kernarg_segment_align: 8
    .kernarg_segment_size: 104
    .language:       OpenCL C
    .language_version:
      - 2
      - 0
    .max_flat_workgroup_size: 247
    .name:           fft_rtc_fwd_len65_factors_13_5_wgs_247_tpt_13_halfLds_sp_op_CI_CI_sbrr_dirReg
    .private_segment_fixed_size: 0
    .sgpr_count:     36
    .sgpr_spill_count: 0
    .symbol:         fft_rtc_fwd_len65_factors_13_5_wgs_247_tpt_13_halfLds_sp_op_CI_CI_sbrr_dirReg.kd
    .uniform_work_group_size: 1
    .uses_dynamic_stack: false
    .vgpr_count:     61
    .vgpr_spill_count: 0
    .wavefront_size: 64
amdhsa.target:   amdgcn-amd-amdhsa--gfx906
amdhsa.version:
  - 1
  - 2
...

	.end_amdgpu_metadata
